;; amdgpu-corpus repo=ROCm/rocFFT kind=compiled arch=gfx1030 opt=O3
	.text
	.amdgcn_target "amdgcn-amd-amdhsa--gfx1030"
	.amdhsa_code_object_version 6
	.protected	fft_rtc_back_len55_factors_5_11_wgs_253_tpt_11_half_ip_CI_sbrr_dirReg ; -- Begin function fft_rtc_back_len55_factors_5_11_wgs_253_tpt_11_half_ip_CI_sbrr_dirReg
	.globl	fft_rtc_back_len55_factors_5_11_wgs_253_tpt_11_half_ip_CI_sbrr_dirReg
	.p2align	8
	.type	fft_rtc_back_len55_factors_5_11_wgs_253_tpt_11_half_ip_CI_sbrr_dirReg,@function
fft_rtc_back_len55_factors_5_11_wgs_253_tpt_11_half_ip_CI_sbrr_dirReg: ; @fft_rtc_back_len55_factors_5_11_wgs_253_tpt_11_half_ip_CI_sbrr_dirReg
; %bb.0:
	s_clause 0x1
	s_load_dwordx2 s[14:15], s[4:5], 0x18
	s_load_dwordx4 s[8:11], s[4:5], 0x0
	v_mul_u32_u24_e32 v1, 0x1746, v0
	v_mov_b32_e32 v3, 0
	v_mov_b32_e32 v5, 0
	v_mov_b32_e32 v6, 0
	s_load_dwordx2 s[12:13], s[4:5], 0x50
	s_waitcnt lgkmcnt(0)
	s_load_dwordx2 s[2:3], s[14:15], 0x0
	v_lshrrev_b32_e32 v1, 16, v1
	v_cmp_lt_u64_e64 s0, s[10:11], 2
	v_mad_u64_u32 v[1:2], null, s6, 23, v[1:2]
	v_mov_b32_e32 v2, v3
	s_and_b32 vcc_lo, exec_lo, s0
	v_mov_b32_e32 v10, v2
	v_mov_b32_e32 v9, v1
	s_cbranch_vccnz .LBB0_8
; %bb.1:
	s_load_dwordx2 s[0:1], s[4:5], 0x10
	v_mov_b32_e32 v5, 0
	v_mov_b32_e32 v8, v2
	s_add_u32 s6, s14, 8
	v_mov_b32_e32 v6, 0
	v_mov_b32_e32 v7, v1
	s_addc_u32 s7, s15, 0
	s_mov_b64 s[18:19], 1
	s_waitcnt lgkmcnt(0)
	s_add_u32 s16, s0, 8
	s_addc_u32 s17, s1, 0
.LBB0_2:                                ; =>This Inner Loop Header: Depth=1
	s_load_dwordx2 s[20:21], s[16:17], 0x0
                                        ; implicit-def: $vgpr9_vgpr10
	s_mov_b32 s0, exec_lo
	s_waitcnt lgkmcnt(0)
	v_or_b32_e32 v4, s21, v8
	v_cmpx_ne_u64_e32 0, v[3:4]
	s_xor_b32 s1, exec_lo, s0
	s_cbranch_execz .LBB0_4
; %bb.3:                                ;   in Loop: Header=BB0_2 Depth=1
	v_cvt_f32_u32_e32 v2, s20
	v_cvt_f32_u32_e32 v4, s21
	s_sub_u32 s0, 0, s20
	s_subb_u32 s22, 0, s21
	v_fmac_f32_e32 v2, 0x4f800000, v4
	v_rcp_f32_e32 v2, v2
	v_mul_f32_e32 v2, 0x5f7ffffc, v2
	v_mul_f32_e32 v4, 0x2f800000, v2
	v_trunc_f32_e32 v4, v4
	v_fmac_f32_e32 v2, 0xcf800000, v4
	v_cvt_u32_f32_e32 v4, v4
	v_cvt_u32_f32_e32 v2, v2
	v_mul_lo_u32 v9, s0, v4
	v_mul_hi_u32 v10, s0, v2
	v_mul_lo_u32 v11, s22, v2
	v_add_nc_u32_e32 v9, v10, v9
	v_mul_lo_u32 v10, s0, v2
	v_add_nc_u32_e32 v9, v9, v11
	v_mul_hi_u32 v11, v2, v10
	v_mul_lo_u32 v12, v2, v9
	v_mul_hi_u32 v13, v2, v9
	v_mul_hi_u32 v14, v4, v10
	v_mul_lo_u32 v10, v4, v10
	v_mul_hi_u32 v15, v4, v9
	v_mul_lo_u32 v9, v4, v9
	v_add_co_u32 v11, vcc_lo, v11, v12
	v_add_co_ci_u32_e32 v12, vcc_lo, 0, v13, vcc_lo
	v_add_co_u32 v10, vcc_lo, v11, v10
	v_add_co_ci_u32_e32 v10, vcc_lo, v12, v14, vcc_lo
	v_add_co_ci_u32_e32 v11, vcc_lo, 0, v15, vcc_lo
	v_add_co_u32 v9, vcc_lo, v10, v9
	v_add_co_ci_u32_e32 v10, vcc_lo, 0, v11, vcc_lo
	v_add_co_u32 v2, vcc_lo, v2, v9
	v_add_co_ci_u32_e32 v4, vcc_lo, v4, v10, vcc_lo
	v_mul_hi_u32 v9, s0, v2
	v_mul_lo_u32 v11, s22, v2
	v_mul_lo_u32 v10, s0, v4
	v_add_nc_u32_e32 v9, v9, v10
	v_mul_lo_u32 v10, s0, v2
	v_add_nc_u32_e32 v9, v9, v11
	v_mul_hi_u32 v11, v2, v10
	v_mul_lo_u32 v12, v2, v9
	v_mul_hi_u32 v13, v2, v9
	v_mul_hi_u32 v14, v4, v10
	v_mul_lo_u32 v10, v4, v10
	v_mul_hi_u32 v15, v4, v9
	v_mul_lo_u32 v9, v4, v9
	v_add_co_u32 v11, vcc_lo, v11, v12
	v_add_co_ci_u32_e32 v12, vcc_lo, 0, v13, vcc_lo
	v_add_co_u32 v10, vcc_lo, v11, v10
	v_add_co_ci_u32_e32 v10, vcc_lo, v12, v14, vcc_lo
	v_add_co_ci_u32_e32 v11, vcc_lo, 0, v15, vcc_lo
	v_add_co_u32 v9, vcc_lo, v10, v9
	v_add_co_ci_u32_e32 v10, vcc_lo, 0, v11, vcc_lo
	v_add_co_u32 v2, vcc_lo, v2, v9
	v_add_co_ci_u32_e32 v4, vcc_lo, v4, v10, vcc_lo
	v_mul_hi_u32 v15, v7, v2
	v_mad_u64_u32 v[11:12], null, v8, v2, 0
	v_mad_u64_u32 v[9:10], null, v7, v4, 0
	v_mad_u64_u32 v[13:14], null, v8, v4, 0
	v_add_co_u32 v2, vcc_lo, v15, v9
	v_add_co_ci_u32_e32 v4, vcc_lo, 0, v10, vcc_lo
	v_add_co_u32 v2, vcc_lo, v2, v11
	v_add_co_ci_u32_e32 v2, vcc_lo, v4, v12, vcc_lo
	v_add_co_ci_u32_e32 v4, vcc_lo, 0, v14, vcc_lo
	v_add_co_u32 v2, vcc_lo, v2, v13
	v_add_co_ci_u32_e32 v4, vcc_lo, 0, v4, vcc_lo
	v_mul_lo_u32 v11, s21, v2
	v_mad_u64_u32 v[9:10], null, s20, v2, 0
	v_mul_lo_u32 v12, s20, v4
	v_sub_co_u32 v9, vcc_lo, v7, v9
	v_add3_u32 v10, v10, v12, v11
	v_sub_nc_u32_e32 v11, v8, v10
	v_subrev_co_ci_u32_e64 v11, s0, s21, v11, vcc_lo
	v_add_co_u32 v12, s0, v2, 2
	v_add_co_ci_u32_e64 v13, s0, 0, v4, s0
	v_sub_co_u32 v14, s0, v9, s20
	v_sub_co_ci_u32_e32 v10, vcc_lo, v8, v10, vcc_lo
	v_subrev_co_ci_u32_e64 v11, s0, 0, v11, s0
	v_cmp_le_u32_e32 vcc_lo, s20, v14
	v_cmp_eq_u32_e64 s0, s21, v10
	v_cndmask_b32_e64 v14, 0, -1, vcc_lo
	v_cmp_le_u32_e32 vcc_lo, s21, v11
	v_cndmask_b32_e64 v15, 0, -1, vcc_lo
	v_cmp_le_u32_e32 vcc_lo, s20, v9
	;; [unrolled: 2-line block ×3, first 2 shown]
	v_cndmask_b32_e64 v16, 0, -1, vcc_lo
	v_cmp_eq_u32_e32 vcc_lo, s21, v11
	v_cndmask_b32_e64 v9, v16, v9, s0
	v_cndmask_b32_e32 v11, v15, v14, vcc_lo
	v_add_co_u32 v14, vcc_lo, v2, 1
	v_add_co_ci_u32_e32 v15, vcc_lo, 0, v4, vcc_lo
	v_cmp_ne_u32_e32 vcc_lo, 0, v11
	v_cndmask_b32_e32 v10, v15, v13, vcc_lo
	v_cndmask_b32_e32 v11, v14, v12, vcc_lo
	v_cmp_ne_u32_e32 vcc_lo, 0, v9
	v_cndmask_b32_e32 v10, v4, v10, vcc_lo
	v_cndmask_b32_e32 v9, v2, v11, vcc_lo
.LBB0_4:                                ;   in Loop: Header=BB0_2 Depth=1
	s_andn2_saveexec_b32 s0, s1
	s_cbranch_execz .LBB0_6
; %bb.5:                                ;   in Loop: Header=BB0_2 Depth=1
	v_cvt_f32_u32_e32 v2, s20
	s_sub_i32 s1, 0, s20
	v_rcp_iflag_f32_e32 v2, v2
	v_mul_f32_e32 v2, 0x4f7ffffe, v2
	v_cvt_u32_f32_e32 v2, v2
	v_mul_lo_u32 v4, s1, v2
	v_mul_hi_u32 v4, v2, v4
	v_add_nc_u32_e32 v2, v2, v4
	v_mul_hi_u32 v2, v7, v2
	v_mul_lo_u32 v4, v2, s20
	v_add_nc_u32_e32 v9, 1, v2
	v_sub_nc_u32_e32 v4, v7, v4
	v_subrev_nc_u32_e32 v10, s20, v4
	v_cmp_le_u32_e32 vcc_lo, s20, v4
	v_cndmask_b32_e32 v4, v4, v10, vcc_lo
	v_cndmask_b32_e32 v2, v2, v9, vcc_lo
	v_mov_b32_e32 v10, v3
	v_cmp_le_u32_e32 vcc_lo, s20, v4
	v_add_nc_u32_e32 v9, 1, v2
	v_cndmask_b32_e32 v9, v2, v9, vcc_lo
.LBB0_6:                                ;   in Loop: Header=BB0_2 Depth=1
	s_or_b32 exec_lo, exec_lo, s0
	s_load_dwordx2 s[0:1], s[6:7], 0x0
	v_mul_lo_u32 v2, v10, s20
	v_mul_lo_u32 v4, v9, s21
	v_mad_u64_u32 v[11:12], null, v9, s20, 0
	s_add_u32 s18, s18, 1
	s_addc_u32 s19, s19, 0
	s_add_u32 s6, s6, 8
	s_addc_u32 s7, s7, 0
	s_add_u32 s16, s16, 8
	s_addc_u32 s17, s17, 0
	v_add3_u32 v2, v12, v4, v2
	v_sub_co_u32 v4, vcc_lo, v7, v11
	v_sub_co_ci_u32_e32 v2, vcc_lo, v8, v2, vcc_lo
	s_waitcnt lgkmcnt(0)
	v_mul_lo_u32 v7, s1, v4
	v_mul_lo_u32 v2, s0, v2
	v_mad_u64_u32 v[5:6], null, s0, v4, v[5:6]
	v_cmp_ge_u64_e64 s0, s[18:19], s[10:11]
	s_and_b32 vcc_lo, exec_lo, s0
	v_add3_u32 v6, v7, v6, v2
	s_cbranch_vccnz .LBB0_8
; %bb.7:                                ;   in Loop: Header=BB0_2 Depth=1
	v_mov_b32_e32 v7, v9
	v_mov_b32_e32 v8, v10
	s_branch .LBB0_2
.LBB0_8:
	s_lshl_b64 s[0:1], s[10:11], 3
	s_add_u32 s0, s14, s0
	s_addc_u32 s1, s15, s1
	s_load_dwordx2 s[0:1], s[0:1], 0x0
	s_load_dwordx2 s[4:5], s[4:5], 0x20
	s_waitcnt lgkmcnt(0)
	v_mul_lo_u32 v4, s0, v10
	v_mul_lo_u32 v7, s1, v9
	v_mad_u64_u32 v[2:3], null, s0, v9, v[5:6]
	v_mul_hi_u32 v5, 0x1745d175, v0
	v_cmp_gt_u64_e32 vcc_lo, s[4:5], v[9:10]
                                        ; implicit-def: $vgpr6
	v_add3_u32 v3, v7, v3, v4
	v_mul_u32_u24_e32 v4, 11, v5
                                        ; implicit-def: $vgpr5
	v_lshlrev_b64 v[20:21], 2, v[2:3]
                                        ; implicit-def: $vgpr3
                                        ; implicit-def: $vgpr2
	v_sub_nc_u32_e32 v24, v0, v4
                                        ; implicit-def: $vgpr4
	s_and_saveexec_b32 s1, vcc_lo
	s_cbranch_execz .LBB0_10
; %bb.9:
	v_mad_u64_u32 v[2:3], null, s2, v24, 0
	v_add_nc_u32_e32 v11, 11, v24
	v_add_nc_u32_e32 v13, 22, v24
	;; [unrolled: 1-line block ×4, first 2 shown]
	v_add_co_u32 v17, s0, s12, v20
	v_mad_u64_u32 v[4:5], null, s2, v11, 0
	v_mad_u64_u32 v[6:7], null, s2, v13, 0
	v_mov_b32_e32 v0, v3
	v_add_co_ci_u32_e64 v18, s0, s13, v21, s0
	v_mad_u64_u32 v[8:9], null, s3, v24, v[0:1]
	v_mov_b32_e32 v0, v5
	v_mov_b32_e32 v3, v7
	v_mad_u64_u32 v[9:10], null, s2, v15, 0
	v_mad_u64_u32 v[11:12], null, s3, v11, v[0:1]
	;; [unrolled: 1-line block ×4, first 2 shown]
	v_mov_b32_e32 v0, v10
	v_mov_b32_e32 v3, v8
	;; [unrolled: 1-line block ×4, first 2 shown]
	v_mad_u64_u32 v[10:11], null, s3, v15, v[0:1]
	v_mov_b32_e32 v0, v14
	v_lshlrev_b64 v[2:3], 2, v[2:3]
	v_lshlrev_b64 v[4:5], 2, v[4:5]
	;; [unrolled: 1-line block ×3, first 2 shown]
	v_mad_u64_u32 v[11:12], null, s3, v16, v[0:1]
	v_add_co_u32 v2, s0, v17, v2
	v_add_co_ci_u32_e64 v3, s0, v18, v3, s0
	v_add_co_u32 v4, s0, v17, v4
	v_mov_b32_e32 v14, v11
	v_lshlrev_b64 v[8:9], 2, v[9:10]
	v_add_co_ci_u32_e64 v5, s0, v18, v5, s0
	v_add_co_u32 v6, s0, v17, v6
	v_lshlrev_b64 v[10:11], 2, v[13:14]
	v_add_co_ci_u32_e64 v7, s0, v18, v7, s0
	v_add_co_u32 v8, s0, v17, v8
	v_add_co_ci_u32_e64 v9, s0, v18, v9, s0
	v_add_co_u32 v10, s0, v17, v10
	v_add_co_ci_u32_e64 v11, s0, v18, v11, s0
	s_clause 0x4
	global_load_dword v3, v[2:3], off
	global_load_dword v5, v[4:5], off
	;; [unrolled: 1-line block ×5, first 2 shown]
.LBB0_10:
	s_or_b32 exec_lo, exec_lo, s1
	v_mul_hi_u32 v7, 0xb21642c9, v1
	s_waitcnt vmcnt(3)
	v_pk_add_f16 v8, v3, v5
	s_waitcnt vmcnt(0)
	v_pk_add_f16 v11, v5, v2
	v_pk_add_f16 v9, v5, v2 neg_lo:[0,1] neg_hi:[0,1]
	v_pk_add_f16 v10, v6, v4 neg_lo:[0,1] neg_hi:[0,1]
	v_pk_add_f16 v12, v6, v5 neg_lo:[0,1] neg_hi:[0,1]
	v_pk_add_f16 v13, v4, v2 neg_lo:[0,1] neg_hi:[0,1]
	v_pk_add_f16 v14, v6, v4
	v_lshrrev_b32_e32 v7, 4, v7
	v_pk_add_f16 v5, v5, v6 neg_lo:[0,1] neg_hi:[0,1]
	v_pk_add_f16 v6, v8, v6
	v_pk_fma_f16 v8, v11, 0.5, v3 op_sel_hi:[1,0,1] neg_lo:[1,0,0] neg_hi:[1,0,0]
	v_pk_add_f16 v11, v12, v13
	v_mul_lo_u32 v7, v7, 23
	v_pk_fma_f16 v3, v14, 0.5, v3 op_sel_hi:[1,0,1] neg_lo:[1,0,0] neg_hi:[1,0,0]
	v_pk_mul_f16 v12, 0x3b9c, v9 op_sel_hi:[0,1]
	v_pk_fma_f16 v14, 0x3b9c, v10, v8 op_sel:[0,0,1] op_sel_hi:[0,1,0]
	v_pk_add_f16 v15, v2, v4 neg_lo:[0,1] neg_hi:[0,1]
	v_pk_mul_f16 v13, 0x38b4, v10 op_sel_hi:[0,1]
	v_pk_add_f16 v4, v6, v4
	v_pk_mul_f16 v6, 0x34f2, v11 op_sel_hi:[0,1]
	v_sub_nc_u32_e32 v1, v1, v7
	v_pk_fma_f16 v7, 0x3b9c, v10, v8 op_sel:[0,0,1] op_sel_hi:[0,1,0] neg_lo:[0,1,0] neg_hi:[0,1,0]
	v_pk_fma_f16 v8, 0x38b4, v9, v14 op_sel_hi:[0,1,1] neg_lo:[0,1,0] neg_hi:[0,1,0]
	v_pk_add_f16 v10, v3, v12 op_sel:[0,1] op_sel_hi:[1,0] neg_lo:[0,1] neg_hi:[0,1]
	v_pk_add_f16 v3, v3, v12 op_sel:[0,1] op_sel_hi:[1,0]
	v_pk_add_f16 v5, v5, v15
	v_pk_fma_f16 v7, 0x38b4, v9, v7 op_sel_hi:[0,1,1]
	v_pk_add_f16 v26, v6, v8 op_sel:[1,0] op_sel_hi:[0,1]
	v_pk_add_f16 v8, v10, v13 op_sel:[0,1] op_sel_hi:[1,0] neg_lo:[0,1] neg_hi:[0,1]
	v_pk_add_f16 v3, v13, v3 op_sel:[1,0] op_sel_hi:[0,1]
	v_pk_add_f16 v25, v4, v2
	v_mad_u32_u24 v0, v24, 20, 0
	v_mul_u32_u24_e32 v1, 55, v1
	v_pk_add_f16 v27, v6, v7 op_sel:[1,0] op_sel_hi:[0,1]
	v_pk_fma_f16 v4, 0x34f2, v5, v3 op_sel_hi:[0,1,1]
	v_bfi_b32 v3, 0xffff, v3, v8
	v_pk_fma_f16 v10, 0x34f2, v5, v8 op_sel_hi:[0,1,1]
	v_lshl_add_u32 v2, v1, 2, v0
	v_alignbit_b32 v6, v26, v27, 16
	v_alignbit_b32 v7, v27, v26, 16
	v_pk_fma_f16 v9, 0x34f2, v5, v3 op_sel_hi:[0,1,1]
	v_lshrrev_b32_e32 v11, 16, v26
	v_bfi_b32 v12, 0xffff, v10, v4
	v_lshrrev_b32_e32 v8, 16, v27
	v_lshrrev_b32_e32 v28, 16, v4
	v_cmp_gt_u32_e64 s0, 5, v24
	v_lshrrev_b32_e32 v31, 16, v9
	ds_write2_b32 v2, v7, v6 offset0:2 offset1:3
	ds_write2_b32 v2, v25, v12 offset1:1
	ds_write_b32 v2, v9 offset:16
	s_waitcnt lgkmcnt(0)
	s_barrier
	buffer_gl0_inv
                                        ; implicit-def: $vgpr33
                                        ; implicit-def: $vgpr17
                                        ; implicit-def: $vgpr32
                                        ; implicit-def: $vgpr30
                                        ; implicit-def: $vgpr13
                                        ; implicit-def: $vgpr29
                                        ; implicit-def: $vgpr35
                                        ; implicit-def: $vgpr15
                                        ; implicit-def: $vgpr34
	s_and_saveexec_b32 s1, s0
	s_cbranch_execnz .LBB0_13
; %bb.11:
	s_or_b32 exec_lo, exec_lo, s1
	s_and_b32 s0, vcc_lo, s0
	s_and_saveexec_b32 s1, s0
	s_cbranch_execnz .LBB0_14
.LBB0_12:
	s_endpgm
.LBB0_13:
	v_lshlrev_b32_e32 v2, 4, v24
	v_lshlrev_b32_e32 v1, 2, v1
	v_sub_nc_u32_e32 v0, v0, v2
	v_lshlrev_b32_e32 v2, 2, v24
	v_add_nc_u32_e32 v0, v0, v1
	v_add3_u32 v1, 0, v1, v2
	ds_read2_b32 v[12:13], v0 offset0:35 offset1:40
	ds_read2_b32 v[16:17], v0 offset0:45 offset1:50
	;; [unrolled: 1-line block ×5, first 2 shown]
	ds_read_b32 v25, v1
	ds_read_u16 v29, v0 offset:142
	s_waitcnt lgkmcnt(6)
	v_lshrrev_b32_e32 v30, 16, v13
	s_waitcnt lgkmcnt(5)
	v_lshrrev_b32_e32 v32, 16, v16
	v_lshrrev_b32_e32 v33, 16, v17
	s_waitcnt lgkmcnt(4)
	v_lshrrev_b32_e32 v28, 16, v10
	;; [unrolled: 3-line block ×4, first 2 shown]
	v_lshrrev_b32_e32 v35, 16, v15
	s_or_b32 exec_lo, exec_lo, s1
	s_and_b32 s0, vcc_lo, s0
	s_and_saveexec_b32 s1, s0
	s_cbranch_execz .LBB0_12
.LBB0_14:
	v_and_b32_e32 v0, 0xff, v24
	v_add_nc_u32_e32 v37, 10, v24
	v_add_nc_u32_e32 v38, 15, v24
	;; [unrolled: 1-line block ×3, first 2 shown]
	v_mad_u64_u32 v[22:23], null, s2, v24, 0
	v_mul_lo_u16 v0, 0xcd, v0
	v_add_nc_u32_e32 v36, 5, v24
	v_mad_u64_u32 v[43:44], null, s2, v37, 0
	v_mad_u64_u32 v[45:46], null, s2, v38, 0
	v_lshrrev_b16 v0, 10, v0
	v_add_nc_u32_e32 v40, 25, v24
	v_mad_u64_u32 v[47:48], null, s2, v39, 0
	v_mad_u64_u32 v[41:42], null, s2, v36, 0
	v_mul_lo_u16 v0, v0, 5
	v_mad_u64_u32 v[49:50], null, s2, v40, 0
	v_mad_u64_u32 v[51:52], null, s3, v24, v[23:24]
	v_sub_nc_u16 v0, v24, v0
	v_mov_b32_e32 v23, v44
	v_mov_b32_e32 v44, v46
	;; [unrolled: 1-line block ×3, first 2 shown]
	v_mad_u64_u32 v[52:53], null, s3, v36, v[42:43]
	v_mul_lo_u16 v0, v0, 10
	v_mad_u64_u32 v[36:37], null, s3, v37, v[23:24]
	v_mad_u64_u32 v[37:38], null, s3, v38, v[44:45]
	v_and_b32_e32 v0, 0xfe, v0
	v_mov_b32_e32 v48, v50
	v_mad_u64_u32 v[38:39], null, s3, v39, v[46:47]
	v_mov_b32_e32 v42, v52
	v_lshlrev_b32_e32 v4, 2, v0
	s_clause 0x2
	global_load_dwordx2 v[18:19], v4, s[8:9] offset:32
	global_load_dwordx4 v[0:3], v4, s[8:9]
	global_load_dwordx4 v[4:7], v4, s[8:9] offset:16
	v_mad_u64_u32 v[39:40], null, s3, v40, v[48:49]
	v_mov_b32_e32 v44, v36
	v_mov_b32_e32 v46, v37
	;; [unrolled: 1-line block ×3, first 2 shown]
	v_lshlrev_b64 v[36:37], 2, v[41:42]
	v_mov_b32_e32 v23, v51
	v_add_co_u32 v20, vcc_lo, s12, v20
	v_mov_b32_e32 v50, v39
	v_lshlrev_b64 v[38:39], 2, v[43:44]
	v_lshlrev_b64 v[40:41], 2, v[45:46]
	;; [unrolled: 1-line block ×5, first 2 shown]
	v_add_co_ci_u32_e32 v21, vcc_lo, s13, v21, vcc_lo
	v_add_nc_u32_e32 v55, 30, v24
	v_add_nc_u32_e32 v56, 35, v24
	v_add_co_u32 v22, vcc_lo, v20, v22
	v_add_co_ci_u32_e32 v23, vcc_lo, v21, v23, vcc_lo
	v_add_co_u32 v36, vcc_lo, v20, v36
	v_add_co_ci_u32_e32 v37, vcc_lo, v21, v37, vcc_lo
	;; [unrolled: 2-line block ×3, first 2 shown]
	v_mad_u64_u32 v[53:54], null, s2, v55, 0
	v_add_co_u32 v40, vcc_lo, v20, v40
	v_add_co_ci_u32_e32 v41, vcc_lo, v21, v41, vcc_lo
	v_add_co_u32 v42, vcc_lo, v20, v42
	v_add_co_ci_u32_e32 v43, vcc_lo, v21, v43, vcc_lo
	s_waitcnt vmcnt(2)
	v_mul_f16_sdwa v46, v17, v19 dst_sel:DWORD dst_unused:UNUSED_PAD src0_sel:DWORD src1_sel:WORD_1
	s_waitcnt vmcnt(1)
	v_mul_f16_sdwa v47, v10, v0 dst_sel:DWORD dst_unused:UNUSED_PAD src0_sel:DWORD src1_sel:WORD_1
	v_mul_f16_sdwa v48, v28, v0 dst_sel:DWORD dst_unused:UNUSED_PAD src0_sel:DWORD src1_sel:WORD_1
	;; [unrolled: 1-line block ×8, first 2 shown]
	s_waitcnt vmcnt(0)
	v_mul_f16_sdwa v62, v12, v6 dst_sel:DWORD dst_unused:UNUSED_PAD src0_sel:DWORD src1_sel:WORD_1
	s_waitcnt lgkmcnt(0)
	v_mul_f16_sdwa v65, v29, v6 dst_sel:DWORD dst_unused:UNUSED_PAD src0_sel:DWORD src1_sel:WORD_1
	v_mul_f16_sdwa v67, v14, v4 dst_sel:DWORD dst_unused:UNUSED_PAD src0_sel:DWORD src1_sel:WORD_1
	;; [unrolled: 1-line block ×3, first 2 shown]
	v_fmac_f16_e32 v48, v10, v0
	v_fma_f16 v10, v33, v19, -v46
	v_fma_f16 v0, v28, v0, -v47
	v_mul_f16_sdwa v57, v32, v18 dst_sel:DWORD dst_unused:UNUSED_PAD src0_sel:DWORD src1_sel:WORD_1
	v_mul_f16_sdwa v58, v13, v7 dst_sel:DWORD dst_unused:UNUSED_PAD src0_sel:DWORD src1_sel:WORD_1
	;; [unrolled: 1-line block ×7, first 2 shown]
	v_fmac_f16_e32 v52, v11, v1
	v_fma_f16 v11, v32, v18, -v50
	v_fma_f16 v1, v27, v1, -v51
	v_fmac_f16_e32 v49, v17, v19
	v_fma_f16 v17, v26, v2, -v59
	v_fmac_f16_e32 v60, v8, v2
	;; [unrolled: 2-line block ×4, first 2 shown]
	v_add_f16_e32 v4, v10, v0
	v_sub_f16_e32 v26, v0, v10
	v_add_f16_sdwa v0, v25, v0 dst_sel:DWORD dst_unused:UNUSED_PAD src0_sel:WORD_1 src1_sel:DWORD
	v_add_f16_e32 v28, v25, v48
	v_fmac_f16_e32 v57, v16, v18
	v_fma_f16 v16, v30, v7, -v58
	v_fmac_f16_e32 v61, v13, v7
	v_fma_f16 v7, v31, v3, -v63
	;; [unrolled: 2-line block ×3, first 2 shown]
	v_fmac_f16_e32 v69, v15, v5
	v_add_f16_e32 v5, v11, v1
	v_sub_f16_e32 v29, v1, v11
	v_add_f16_e32 v0, v0, v1
	v_add_f16_e32 v1, v28, v52
	;; [unrolled: 1-line block ×7, first 2 shown]
	v_sub_f16_e32 v9, v48, v49
	v_sub_f16_e32 v12, v52, v57
	;; [unrolled: 1-line block ×3, first 2 shown]
	v_add_f16_e32 v0, v0, v7
	v_add_f16_e32 v1, v1, v64
	v_sub_f16_e32 v15, v64, v65
	v_sub_f16_e32 v19, v68, v69
	v_add_f16_e32 v27, v49, v48
	v_sub_f16_e32 v31, v17, v16
	v_sub_f16_e32 v33, v7, v2
	;; [unrolled: 1-line block ×3, first 2 shown]
	v_mul_f16_e32 v47, 0xbbad, v4
	v_mul_f16_e32 v48, 0x3abb, v5
	;; [unrolled: 1-line block ×30, first 2 shown]
	v_add_f16_e32 v1, v1, v68
	v_add_f16_e32 v0, v0, v6
	;; [unrolled: 1-line block ×6, first 2 shown]
	v_mul_f16_e32 v28, 0x3853, v29
	v_mul_f16_e32 v52, 0x3beb, v29
	;; [unrolled: 1-line block ×20, first 2 shown]
	v_fmamk_f16 v98, v9, 0x3482, v47
	v_fmamk_f16 v99, v12, 0xb853, v48
	;; [unrolled: 1-line block ×9, first 2 shown]
	v_fmac_f16_e32 v47, 0xb482, v9
	v_fmac_f16_e32 v51, 0xba0c, v9
	;; [unrolled: 1-line block ×5, first 2 shown]
	v_fmamk_f16 v9, v12, 0x3b47, v5
	v_fmac_f16_e32 v48, 0x3853, v12
	v_fmac_f16_e32 v58, 0x3beb, v12
	v_fmac_f16_e32 v63, 0x3482, v12
	v_fmac_f16_e32 v67, 0xba0c, v12
	v_fmac_f16_e32 v5, 0xbb47, v12
	v_fmamk_f16 v12, v13, 0x3a0c, v50
	v_fmac_f16_e32 v50, 0xba0c, v13
	v_fmamk_f16 v107, v13, 0x3853, v59
	v_fmac_f16_e32 v59, 0xb853, v13
	;; [unrolled: 2-line block ×15, first 2 shown]
	v_fmamk_f16 v19, v27, 0xbbad, v80
	v_fmamk_f16 v119, v27, 0xb93d, v81
	;; [unrolled: 1-line block ×5, first 2 shown]
	v_add_f16_e32 v1, v69, v1
	v_add_f16_e32 v0, v3, v0
	v_fma_f16 v80, v27, 0xbbad, -v80
	v_fma_f16 v81, v27, 0xb93d, -v81
	;; [unrolled: 1-line block ×5, first 2 shown]
	v_fmamk_f16 v27, v30, 0x3abb, v28
	v_fma_f16 v28, v30, 0x3abb, -v28
	v_fmamk_f16 v123, v30, 0xb08e, v52
	v_fma_f16 v52, v30, 0xb08e, -v52
	;; [unrolled: 2-line block ×20, first 2 shown]
	v_add_f16_sdwa v7, v25, v98 dst_sel:DWORD dst_unused:UNUSED_PAD src0_sel:WORD_1 src1_sel:DWORD
	v_add_f16_e32 v19, v25, v19
	v_add_f16_sdwa v46, v25, v100 dst_sel:DWORD dst_unused:UNUSED_PAD src0_sel:WORD_1 src1_sel:DWORD
	v_add_f16_e32 v64, v25, v119
	;; [unrolled: 2-line block ×3, first 2 shown]
	v_add_f16_sdwa v102, v25, v104 dst_sel:DWORD dst_unused:UNUSED_PAD src0_sel:WORD_1 src1_sel:DWORD
	v_add_f16_sdwa v106, v25, v106 dst_sel:DWORD dst_unused:UNUSED_PAD src0_sel:WORD_1 src1_sel:DWORD
	v_add_f16_e32 v119, v25, v122
	v_add_f16_e32 v104, v25, v121
	v_add_f16_e32 v1, v65, v1
	v_add_f16_e32 v0, v2, v0
	v_add_f16_sdwa v47, v25, v47 dst_sel:DWORD dst_unused:UNUSED_PAD src0_sel:WORD_1 src1_sel:DWORD
	v_add_f16_e32 v80, v25, v80
	v_add_f16_sdwa v51, v25, v51 dst_sel:DWORD dst_unused:UNUSED_PAD src0_sel:WORD_1 src1_sel:DWORD
	v_add_f16_e32 v81, v25, v81
	;; [unrolled: 2-line block ×5, first 2 shown]
	v_add_f16_e32 v7, v7, v99
	v_add_f16_e32 v19, v19, v27
	;; [unrolled: 1-line block ×61, first 2 shown]
	v_or_b32_e32 v11, 40, v24
	v_pack_b32_f16 v0, v1, v0
	v_pack_b32_f16 v1, v25, v9
	v_add_f16_e32 v16, v2, v76
	v_pack_b32_f16 v2, v19, v17
	v_add_f16_e32 v26, v3, v94
	;; [unrolled: 2-line block ×3, first 2 shown]
	v_add_f16_e32 v18, v4, v18
	v_add_f16_e32 v33, v5, v35
	v_pack_b32_f16 v4, v8, v7
	v_mad_u64_u32 v[5:6], null, s2, v11, 0
	global_store_dword v[22:23], v0, off
	global_store_dword v[36:37], v1, off
	;; [unrolled: 1-line block ×5, first 2 shown]
	v_mad_u64_u32 v[0:1], null, s2, v56, 0
	v_mov_b32_e32 v4, v54
	v_add_co_u32 v2, vcc_lo, v20, v44
	v_add_nc_u32_e32 v12, 45, v24
	v_add_nc_u32_e32 v13, 50, v24
	v_mad_u64_u32 v[7:8], null, s3, v55, v[4:5]
	v_mad_u64_u32 v[8:9], null, s3, v56, v[1:2]
	v_mov_b32_e32 v1, v6
	v_mad_u64_u32 v[9:10], null, s2, v12, 0
	v_add_co_ci_u32_e32 v3, vcc_lo, v21, v45, vcc_lo
	v_pack_b32_f16 v4, v15, v14
	v_mov_b32_e32 v54, v7
	v_mad_u64_u32 v[6:7], null, s3, v11, v[1:2]
	v_mov_b32_e32 v1, v8
	v_mad_u64_u32 v[7:8], null, s2, v13, 0
	global_store_dword v[2:3], v4, off
	v_mov_b32_e32 v4, v10
	v_add_f16_e32 v48, v81, v52
	v_add_f16_e32 v51, v62, v63
	;; [unrolled: 1-line block ×3, first 2 shown]
	v_lshlrev_b64 v[2:3], 2, v[53:54]
	v_mad_u64_u32 v[10:11], null, s3, v12, v[4:5]
	v_lshlrev_b64 v[5:6], 2, v[5:6]
	v_mov_b32_e32 v4, v8
	v_add_f16_e32 v58, v66, v67
	v_add_f16_e32 v62, v83, v85
	v_lshlrev_b64 v[0:1], 2, v[0:1]
	v_add_f16_e32 v30, v48, v86
	v_mad_u64_u32 v[11:12], null, s3, v13, v[4:5]
	v_add_f16_e32 v47, v51, v70
	v_add_f16_e32 v48, v52, v88
	;; [unrolled: 1-line block ×4, first 2 shown]
	v_add_co_u32 v2, vcc_lo, v20, v2
	v_add_co_ci_u32_e32 v3, vcc_lo, v21, v3, vcc_lo
	v_add_f16_e32 v28, v30, v91
	v_add_co_u32 v0, vcc_lo, v20, v0
	v_mov_b32_e32 v8, v11
	v_add_f16_e32 v29, v47, v74
	v_add_f16_e32 v30, v48, v92
	;; [unrolled: 1-line block ×4, first 2 shown]
	v_add_co_ci_u32_e32 v1, vcc_lo, v21, v1, vcc_lo
	v_lshlrev_b64 v[9:10], 2, v[9:10]
	v_add_co_u32 v4, vcc_lo, v20, v5
	v_add_f16_e32 v28, v28, v95
	v_add_co_ci_u32_e32 v5, vcc_lo, v21, v6, vcc_lo
	v_lshlrev_b64 v[6:7], 2, v[7:8]
	v_add_f16_e32 v29, v29, v78
	v_add_f16_e32 v30, v30, v96
	;; [unrolled: 1-line block ×4, first 2 shown]
	v_add_co_u32 v8, vcc_lo, v20, v9
	v_pack_b32_f16 v14, v26, v16
	v_pack_b32_f16 v12, v28, v27
	v_add_co_ci_u32_e32 v9, vcc_lo, v21, v10, vcc_lo
	v_pack_b32_f16 v11, v30, v29
	v_add_co_u32 v6, vcc_lo, v20, v6
	v_pack_b32_f16 v10, v32, v31
	v_add_co_ci_u32_e32 v7, vcc_lo, v21, v7, vcc_lo
	v_pack_b32_f16 v13, v33, v18
	global_store_dword v[2:3], v14, off
	global_store_dword v[0:1], v12, off
	;; [unrolled: 1-line block ×5, first 2 shown]
	s_endpgm
	.section	.rodata,"a",@progbits
	.p2align	6, 0x0
	.amdhsa_kernel fft_rtc_back_len55_factors_5_11_wgs_253_tpt_11_half_ip_CI_sbrr_dirReg
		.amdhsa_group_segment_fixed_size 0
		.amdhsa_private_segment_fixed_size 0
		.amdhsa_kernarg_size 88
		.amdhsa_user_sgpr_count 6
		.amdhsa_user_sgpr_private_segment_buffer 1
		.amdhsa_user_sgpr_dispatch_ptr 0
		.amdhsa_user_sgpr_queue_ptr 0
		.amdhsa_user_sgpr_kernarg_segment_ptr 1
		.amdhsa_user_sgpr_dispatch_id 0
		.amdhsa_user_sgpr_flat_scratch_init 0
		.amdhsa_user_sgpr_private_segment_size 0
		.amdhsa_wavefront_size32 1
		.amdhsa_uses_dynamic_stack 0
		.amdhsa_system_sgpr_private_segment_wavefront_offset 0
		.amdhsa_system_sgpr_workgroup_id_x 1
		.amdhsa_system_sgpr_workgroup_id_y 0
		.amdhsa_system_sgpr_workgroup_id_z 0
		.amdhsa_system_sgpr_workgroup_info 0
		.amdhsa_system_vgpr_workitem_id 0
		.amdhsa_next_free_vgpr 137
		.amdhsa_next_free_sgpr 23
		.amdhsa_reserve_vcc 1
		.amdhsa_reserve_flat_scratch 0
		.amdhsa_float_round_mode_32 0
		.amdhsa_float_round_mode_16_64 0
		.amdhsa_float_denorm_mode_32 3
		.amdhsa_float_denorm_mode_16_64 3
		.amdhsa_dx10_clamp 1
		.amdhsa_ieee_mode 1
		.amdhsa_fp16_overflow 0
		.amdhsa_workgroup_processor_mode 1
		.amdhsa_memory_ordered 1
		.amdhsa_forward_progress 0
		.amdhsa_shared_vgpr_count 0
		.amdhsa_exception_fp_ieee_invalid_op 0
		.amdhsa_exception_fp_denorm_src 0
		.amdhsa_exception_fp_ieee_div_zero 0
		.amdhsa_exception_fp_ieee_overflow 0
		.amdhsa_exception_fp_ieee_underflow 0
		.amdhsa_exception_fp_ieee_inexact 0
		.amdhsa_exception_int_div_zero 0
	.end_amdhsa_kernel
	.text
.Lfunc_end0:
	.size	fft_rtc_back_len55_factors_5_11_wgs_253_tpt_11_half_ip_CI_sbrr_dirReg, .Lfunc_end0-fft_rtc_back_len55_factors_5_11_wgs_253_tpt_11_half_ip_CI_sbrr_dirReg
                                        ; -- End function
	.section	.AMDGPU.csdata,"",@progbits
; Kernel info:
; codeLenInByte = 5108
; NumSgprs: 25
; NumVgprs: 137
; ScratchSize: 0
; MemoryBound: 0
; FloatMode: 240
; IeeeMode: 1
; LDSByteSize: 0 bytes/workgroup (compile time only)
; SGPRBlocks: 3
; VGPRBlocks: 17
; NumSGPRsForWavesPerEU: 25
; NumVGPRsForWavesPerEU: 137
; Occupancy: 7
; WaveLimiterHint : 1
; COMPUTE_PGM_RSRC2:SCRATCH_EN: 0
; COMPUTE_PGM_RSRC2:USER_SGPR: 6
; COMPUTE_PGM_RSRC2:TRAP_HANDLER: 0
; COMPUTE_PGM_RSRC2:TGID_X_EN: 1
; COMPUTE_PGM_RSRC2:TGID_Y_EN: 0
; COMPUTE_PGM_RSRC2:TGID_Z_EN: 0
; COMPUTE_PGM_RSRC2:TIDIG_COMP_CNT: 0
	.text
	.p2alignl 6, 3214868480
	.fill 48, 4, 3214868480
	.type	__hip_cuid_d177c16a4e68520c,@object ; @__hip_cuid_d177c16a4e68520c
	.section	.bss,"aw",@nobits
	.globl	__hip_cuid_d177c16a4e68520c
__hip_cuid_d177c16a4e68520c:
	.byte	0                               ; 0x0
	.size	__hip_cuid_d177c16a4e68520c, 1

	.ident	"AMD clang version 19.0.0git (https://github.com/RadeonOpenCompute/llvm-project roc-6.4.0 25133 c7fe45cf4b819c5991fe208aaa96edf142730f1d)"
	.section	".note.GNU-stack","",@progbits
	.addrsig
	.addrsig_sym __hip_cuid_d177c16a4e68520c
	.amdgpu_metadata
---
amdhsa.kernels:
  - .args:
      - .actual_access:  read_only
        .address_space:  global
        .offset:         0
        .size:           8
        .value_kind:     global_buffer
      - .offset:         8
        .size:           8
        .value_kind:     by_value
      - .actual_access:  read_only
        .address_space:  global
        .offset:         16
        .size:           8
        .value_kind:     global_buffer
      - .actual_access:  read_only
        .address_space:  global
        .offset:         24
        .size:           8
        .value_kind:     global_buffer
      - .offset:         32
        .size:           8
        .value_kind:     by_value
      - .actual_access:  read_only
        .address_space:  global
        .offset:         40
        .size:           8
        .value_kind:     global_buffer
      - .actual_access:  read_only
        .address_space:  global
        .offset:         48
        .size:           8
        .value_kind:     global_buffer
      - .offset:         56
        .size:           4
        .value_kind:     by_value
      - .actual_access:  read_only
        .address_space:  global
        .offset:         64
        .size:           8
        .value_kind:     global_buffer
      - .actual_access:  read_only
        .address_space:  global
        .offset:         72
        .size:           8
        .value_kind:     global_buffer
      - .address_space:  global
        .offset:         80
        .size:           8
        .value_kind:     global_buffer
    .group_segment_fixed_size: 0
    .kernarg_segment_align: 8
    .kernarg_segment_size: 88
    .language:       OpenCL C
    .language_version:
      - 2
      - 0
    .max_flat_workgroup_size: 253
    .name:           fft_rtc_back_len55_factors_5_11_wgs_253_tpt_11_half_ip_CI_sbrr_dirReg
    .private_segment_fixed_size: 0
    .sgpr_count:     25
    .sgpr_spill_count: 0
    .symbol:         fft_rtc_back_len55_factors_5_11_wgs_253_tpt_11_half_ip_CI_sbrr_dirReg.kd
    .uniform_work_group_size: 1
    .uses_dynamic_stack: false
    .vgpr_count:     137
    .vgpr_spill_count: 0
    .wavefront_size: 32
    .workgroup_processor_mode: 1
amdhsa.target:   amdgcn-amd-amdhsa--gfx1030
amdhsa.version:
  - 1
  - 2
...

	.end_amdgpu_metadata
